;; amdgpu-corpus repo=ROCm/rocFFT kind=compiled arch=gfx1030 opt=O3
	.text
	.amdgcn_target "amdgcn-amd-amdhsa--gfx1030"
	.amdhsa_code_object_version 6
	.protected	fft_rtc_back_len72_factors_8_3_3_wgs_63_tpt_9_halfLds_dp_op_CI_CI_unitstride_sbrr_dirReg ; -- Begin function fft_rtc_back_len72_factors_8_3_3_wgs_63_tpt_9_halfLds_dp_op_CI_CI_unitstride_sbrr_dirReg
	.globl	fft_rtc_back_len72_factors_8_3_3_wgs_63_tpt_9_halfLds_dp_op_CI_CI_unitstride_sbrr_dirReg
	.p2align	8
	.type	fft_rtc_back_len72_factors_8_3_3_wgs_63_tpt_9_halfLds_dp_op_CI_CI_unitstride_sbrr_dirReg,@function
fft_rtc_back_len72_factors_8_3_3_wgs_63_tpt_9_halfLds_dp_op_CI_CI_unitstride_sbrr_dirReg: ; @fft_rtc_back_len72_factors_8_3_3_wgs_63_tpt_9_halfLds_dp_op_CI_CI_unitstride_sbrr_dirReg
; %bb.0:
	s_load_dwordx4 s[8:11], s[4:5], 0x0
	v_mul_u32_u24_e32 v1, 0x1c72, v0
	s_clause 0x1
	s_load_dwordx4 s[12:15], s[4:5], 0x58
	s_load_dwordx4 s[16:19], s[4:5], 0x18
	v_mov_b32_e32 v3, 0
	v_lshrrev_b32_e32 v4, 16, v1
	v_mov_b32_e32 v1, 0
	v_mov_b32_e32 v2, 0
	v_mad_u64_u32 v[38:39], null, s6, 7, v[4:5]
	v_mov_b32_e32 v39, v3
	v_mov_b32_e32 v35, v2
	;; [unrolled: 1-line block ×4, first 2 shown]
	s_waitcnt lgkmcnt(0)
	v_cmp_lt_u64_e64 s0, s[10:11], 2
	v_mov_b32_e32 v37, v39
	s_and_b32 vcc_lo, exec_lo, s0
	s_cbranch_vccnz .LBB0_8
; %bb.1:
	s_load_dwordx2 s[0:1], s[4:5], 0x10
	v_mov_b32_e32 v1, 0
	v_mov_b32_e32 v2, 0
	s_add_u32 s2, s18, 8
	v_mov_b32_e32 v5, v38
	s_addc_u32 s3, s19, 0
	v_mov_b32_e32 v6, v39
	v_mov_b32_e32 v35, v2
	s_add_u32 s6, s16, 8
	v_mov_b32_e32 v34, v1
	s_addc_u32 s7, s17, 0
	s_mov_b64 s[22:23], 1
	s_waitcnt lgkmcnt(0)
	s_add_u32 s20, s0, 8
	s_addc_u32 s21, s1, 0
.LBB0_2:                                ; =>This Inner Loop Header: Depth=1
	s_load_dwordx2 s[24:25], s[20:21], 0x0
                                        ; implicit-def: $vgpr36_vgpr37
	s_mov_b32 s0, exec_lo
	s_waitcnt lgkmcnt(0)
	v_or_b32_e32 v4, s25, v6
	v_cmpx_ne_u64_e32 0, v[3:4]
	s_xor_b32 s1, exec_lo, s0
	s_cbranch_execz .LBB0_4
; %bb.3:                                ;   in Loop: Header=BB0_2 Depth=1
	v_cvt_f32_u32_e32 v4, s24
	v_cvt_f32_u32_e32 v7, s25
	s_sub_u32 s0, 0, s24
	s_subb_u32 s26, 0, s25
	v_fmac_f32_e32 v4, 0x4f800000, v7
	v_rcp_f32_e32 v4, v4
	v_mul_f32_e32 v4, 0x5f7ffffc, v4
	v_mul_f32_e32 v7, 0x2f800000, v4
	v_trunc_f32_e32 v7, v7
	v_fmac_f32_e32 v4, 0xcf800000, v7
	v_cvt_u32_f32_e32 v7, v7
	v_cvt_u32_f32_e32 v4, v4
	v_mul_lo_u32 v8, s0, v7
	v_mul_hi_u32 v9, s0, v4
	v_mul_lo_u32 v10, s26, v4
	v_add_nc_u32_e32 v8, v9, v8
	v_mul_lo_u32 v9, s0, v4
	v_add_nc_u32_e32 v8, v8, v10
	v_mul_hi_u32 v10, v4, v9
	v_mul_lo_u32 v11, v4, v8
	v_mul_hi_u32 v12, v4, v8
	v_mul_hi_u32 v13, v7, v9
	v_mul_lo_u32 v9, v7, v9
	v_mul_hi_u32 v14, v7, v8
	v_mul_lo_u32 v8, v7, v8
	v_add_co_u32 v10, vcc_lo, v10, v11
	v_add_co_ci_u32_e32 v11, vcc_lo, 0, v12, vcc_lo
	v_add_co_u32 v9, vcc_lo, v10, v9
	v_add_co_ci_u32_e32 v9, vcc_lo, v11, v13, vcc_lo
	v_add_co_ci_u32_e32 v10, vcc_lo, 0, v14, vcc_lo
	v_add_co_u32 v8, vcc_lo, v9, v8
	v_add_co_ci_u32_e32 v9, vcc_lo, 0, v10, vcc_lo
	v_add_co_u32 v4, vcc_lo, v4, v8
	v_add_co_ci_u32_e32 v7, vcc_lo, v7, v9, vcc_lo
	v_mul_hi_u32 v8, s0, v4
	v_mul_lo_u32 v10, s26, v4
	v_mul_lo_u32 v9, s0, v7
	v_add_nc_u32_e32 v8, v8, v9
	v_mul_lo_u32 v9, s0, v4
	v_add_nc_u32_e32 v8, v8, v10
	v_mul_hi_u32 v10, v4, v9
	v_mul_lo_u32 v11, v4, v8
	v_mul_hi_u32 v12, v4, v8
	v_mul_hi_u32 v13, v7, v9
	v_mul_lo_u32 v9, v7, v9
	v_mul_hi_u32 v14, v7, v8
	v_mul_lo_u32 v8, v7, v8
	v_add_co_u32 v10, vcc_lo, v10, v11
	v_add_co_ci_u32_e32 v11, vcc_lo, 0, v12, vcc_lo
	v_add_co_u32 v9, vcc_lo, v10, v9
	v_add_co_ci_u32_e32 v9, vcc_lo, v11, v13, vcc_lo
	v_add_co_ci_u32_e32 v10, vcc_lo, 0, v14, vcc_lo
	v_add_co_u32 v8, vcc_lo, v9, v8
	v_add_co_ci_u32_e32 v9, vcc_lo, 0, v10, vcc_lo
	v_add_co_u32 v4, vcc_lo, v4, v8
	v_add_co_ci_u32_e32 v11, vcc_lo, v7, v9, vcc_lo
	v_mul_hi_u32 v13, v5, v4
	v_mad_u64_u32 v[9:10], null, v6, v4, 0
	v_mad_u64_u32 v[7:8], null, v5, v11, 0
	;; [unrolled: 1-line block ×3, first 2 shown]
	v_add_co_u32 v4, vcc_lo, v13, v7
	v_add_co_ci_u32_e32 v7, vcc_lo, 0, v8, vcc_lo
	v_add_co_u32 v4, vcc_lo, v4, v9
	v_add_co_ci_u32_e32 v4, vcc_lo, v7, v10, vcc_lo
	v_add_co_ci_u32_e32 v7, vcc_lo, 0, v12, vcc_lo
	v_add_co_u32 v4, vcc_lo, v4, v11
	v_add_co_ci_u32_e32 v9, vcc_lo, 0, v7, vcc_lo
	v_mul_lo_u32 v10, s25, v4
	v_mad_u64_u32 v[7:8], null, s24, v4, 0
	v_mul_lo_u32 v11, s24, v9
	v_sub_co_u32 v7, vcc_lo, v5, v7
	v_add3_u32 v8, v8, v11, v10
	v_sub_nc_u32_e32 v10, v6, v8
	v_subrev_co_ci_u32_e64 v10, s0, s25, v10, vcc_lo
	v_add_co_u32 v11, s0, v4, 2
	v_add_co_ci_u32_e64 v12, s0, 0, v9, s0
	v_sub_co_u32 v13, s0, v7, s24
	v_sub_co_ci_u32_e32 v8, vcc_lo, v6, v8, vcc_lo
	v_subrev_co_ci_u32_e64 v10, s0, 0, v10, s0
	v_cmp_le_u32_e32 vcc_lo, s24, v13
	v_cmp_eq_u32_e64 s0, s25, v8
	v_cndmask_b32_e64 v13, 0, -1, vcc_lo
	v_cmp_le_u32_e32 vcc_lo, s25, v10
	v_cndmask_b32_e64 v14, 0, -1, vcc_lo
	v_cmp_le_u32_e32 vcc_lo, s24, v7
	;; [unrolled: 2-line block ×3, first 2 shown]
	v_cndmask_b32_e64 v15, 0, -1, vcc_lo
	v_cmp_eq_u32_e32 vcc_lo, s25, v10
	v_cndmask_b32_e64 v7, v15, v7, s0
	v_cndmask_b32_e32 v10, v14, v13, vcc_lo
	v_add_co_u32 v13, vcc_lo, v4, 1
	v_add_co_ci_u32_e32 v14, vcc_lo, 0, v9, vcc_lo
	v_cmp_ne_u32_e32 vcc_lo, 0, v10
	v_cndmask_b32_e32 v8, v14, v12, vcc_lo
	v_cndmask_b32_e32 v10, v13, v11, vcc_lo
	v_cmp_ne_u32_e32 vcc_lo, 0, v7
	v_cndmask_b32_e32 v37, v9, v8, vcc_lo
	v_cndmask_b32_e32 v36, v4, v10, vcc_lo
.LBB0_4:                                ;   in Loop: Header=BB0_2 Depth=1
	s_andn2_saveexec_b32 s0, s1
	s_cbranch_execz .LBB0_6
; %bb.5:                                ;   in Loop: Header=BB0_2 Depth=1
	v_cvt_f32_u32_e32 v4, s24
	s_sub_i32 s1, 0, s24
	v_mov_b32_e32 v37, v3
	v_rcp_iflag_f32_e32 v4, v4
	v_mul_f32_e32 v4, 0x4f7ffffe, v4
	v_cvt_u32_f32_e32 v4, v4
	v_mul_lo_u32 v7, s1, v4
	v_mul_hi_u32 v7, v4, v7
	v_add_nc_u32_e32 v4, v4, v7
	v_mul_hi_u32 v4, v5, v4
	v_mul_lo_u32 v7, v4, s24
	v_add_nc_u32_e32 v8, 1, v4
	v_sub_nc_u32_e32 v7, v5, v7
	v_subrev_nc_u32_e32 v9, s24, v7
	v_cmp_le_u32_e32 vcc_lo, s24, v7
	v_cndmask_b32_e32 v7, v7, v9, vcc_lo
	v_cndmask_b32_e32 v4, v4, v8, vcc_lo
	v_cmp_le_u32_e32 vcc_lo, s24, v7
	v_add_nc_u32_e32 v8, 1, v4
	v_cndmask_b32_e32 v36, v4, v8, vcc_lo
.LBB0_6:                                ;   in Loop: Header=BB0_2 Depth=1
	s_or_b32 exec_lo, exec_lo, s0
	v_mul_lo_u32 v4, v37, s24
	v_mul_lo_u32 v9, v36, s25
	s_load_dwordx2 s[0:1], s[6:7], 0x0
	v_mad_u64_u32 v[7:8], null, v36, s24, 0
	s_load_dwordx2 s[24:25], s[2:3], 0x0
	s_add_u32 s22, s22, 1
	s_addc_u32 s23, s23, 0
	s_add_u32 s2, s2, 8
	s_addc_u32 s3, s3, 0
	s_add_u32 s6, s6, 8
	v_add3_u32 v4, v8, v9, v4
	v_sub_co_u32 v5, vcc_lo, v5, v7
	s_addc_u32 s7, s7, 0
	s_add_u32 s20, s20, 8
	v_sub_co_ci_u32_e32 v4, vcc_lo, v6, v4, vcc_lo
	s_addc_u32 s21, s21, 0
	s_waitcnt lgkmcnt(0)
	v_mul_lo_u32 v6, s0, v4
	v_mul_lo_u32 v7, s1, v5
	v_mad_u64_u32 v[1:2], null, s0, v5, v[1:2]
	v_mul_lo_u32 v4, s24, v4
	v_mul_lo_u32 v8, s25, v5
	v_mad_u64_u32 v[34:35], null, s24, v5, v[34:35]
	v_cmp_ge_u64_e64 s0, s[22:23], s[10:11]
	v_add3_u32 v2, v7, v2, v6
	v_add3_u32 v35, v8, v35, v4
	s_and_b32 vcc_lo, exec_lo, s0
	s_cbranch_vccnz .LBB0_8
; %bb.7:                                ;   in Loop: Header=BB0_2 Depth=1
	v_mov_b32_e32 v5, v36
	v_mov_b32_e32 v6, v37
	s_branch .LBB0_2
.LBB0_8:
	s_load_dwordx2 s[0:1], s[4:5], 0x28
	v_mul_hi_u32 v3, 0x1c71c71d, v0
	s_lshl_b64 s[4:5], s[10:11], 3
                                        ; implicit-def: $vgpr52
	s_add_u32 s2, s18, s4
	s_addc_u32 s3, s19, s5
	s_waitcnt lgkmcnt(0)
	v_cmp_gt_u64_e32 vcc_lo, s[0:1], v[36:37]
	v_cmp_le_u64_e64 s0, s[0:1], v[36:37]
	s_and_saveexec_b32 s1, s0
	s_xor_b32 s0, exec_lo, s1
; %bb.9:
	v_mul_u32_u24_e32 v1, 9, v3
                                        ; implicit-def: $vgpr3
	v_sub_nc_u32_e32 v52, v0, v1
                                        ; implicit-def: $vgpr0
                                        ; implicit-def: $vgpr1_vgpr2
; %bb.10:
	s_or_saveexec_b32 s1, s0
                                        ; implicit-def: $vgpr12_vgpr13
                                        ; implicit-def: $vgpr16_vgpr17
                                        ; implicit-def: $vgpr20_vgpr21
                                        ; implicit-def: $vgpr28_vgpr29
                                        ; implicit-def: $vgpr32_vgpr33
                                        ; implicit-def: $vgpr24_vgpr25
                                        ; implicit-def: $vgpr8_vgpr9
                                        ; implicit-def: $vgpr4_vgpr5
	s_xor_b32 exec_lo, exec_lo, s1
	s_cbranch_execz .LBB0_12
; %bb.11:
	s_add_u32 s4, s16, s4
	s_addc_u32 s5, s17, s5
	v_lshlrev_b64 v[1:2], 4, v[1:2]
	s_load_dwordx2 s[4:5], s[4:5], 0x0
	s_waitcnt lgkmcnt(0)
	v_mul_lo_u32 v6, s5, v36
	v_mul_lo_u32 v7, s4, v37
	v_mad_u64_u32 v[4:5], null, s4, v36, 0
	v_add3_u32 v5, v5, v7, v6
	v_mul_u32_u24_e32 v6, 9, v3
	v_lshlrev_b64 v[3:4], 4, v[4:5]
	v_sub_nc_u32_e32 v52, v0, v6
	v_add_co_u32 v0, s0, s12, v3
	v_add_co_ci_u32_e64 v3, s0, s13, v4, s0
	v_lshlrev_b32_e32 v4, 4, v52
	v_add_co_u32 v0, s0, v0, v1
	v_add_co_ci_u32_e64 v1, s0, v3, v2, s0
	v_add_co_u32 v0, s0, v0, v4
	v_add_co_ci_u32_e64 v1, s0, 0, v1, s0
	s_clause 0x7
	global_load_dwordx4 v[2:5], v[0:1], off
	global_load_dwordx4 v[10:13], v[0:1], off offset:144
	global_load_dwordx4 v[6:9], v[0:1], off offset:288
	;; [unrolled: 1-line block ×7, first 2 shown]
.LBB0_12:
	s_or_b32 exec_lo, exec_lo, s1
	s_waitcnt vmcnt(3)
	v_add_f64 v[0:1], v[2:3], -v[18:19]
	s_waitcnt vmcnt(1)
	v_add_f64 v[39:40], v[6:7], -v[26:27]
	v_add_f64 v[18:19], v[10:11], -v[22:23]
	;; [unrolled: 1-line block ×3, first 2 shown]
	s_waitcnt vmcnt(0)
	v_add_f64 v[26:27], v[14:15], -v[30:31]
	v_add_f64 v[28:29], v[16:17], -v[32:33]
	;; [unrolled: 1-line block ×3, first 2 shown]
	s_mov_b32 s0, 0x667f3bcd
	s_mov_b32 s1, 0x3fe6a09e
	;; [unrolled: 1-line block ×4, first 2 shown]
	s_load_dwordx2 s[2:3], s[2:3], 0x0
	v_fma_f64 v[2:3], v[2:3], 2.0, -v[0:1]
	v_fma_f64 v[6:7], v[6:7], 2.0, -v[39:40]
	;; [unrolled: 1-line block ×3, first 2 shown]
	v_add_f64 v[41:42], v[22:23], v[0:1]
	v_fma_f64 v[14:15], v[14:15], 2.0, -v[26:27]
	v_add_f64 v[43:44], v[28:29], v[18:19]
	v_fma_f64 v[10:11], v[12:13], 2.0, -v[30:31]
	v_fma_f64 v[12:13], v[16:17], 2.0, -v[28:29]
	v_add_f64 v[45:46], v[30:31], -v[26:27]
	v_add_f64 v[16:17], v[2:3], -v[6:7]
	v_fma_f64 v[28:29], v[0:1], 2.0, -v[41:42]
	v_add_f64 v[6:7], v[32:33], -v[14:15]
	v_fma_f64 v[47:48], v[18:19], 2.0, -v[43:44]
	v_mul_hi_u32 v0, 0x24924925, v38
	v_add_f64 v[24:25], v[10:11], -v[12:13]
	v_fma_f64 v[12:13], v[43:44], s[0:1], v[41:42]
	v_fma_f64 v[30:31], v[30:31], 2.0, -v[45:46]
	v_sub_nc_u32_e32 v1, v38, v0
	v_lshrrev_b32_e32 v1, 1, v1
	v_fma_f64 v[26:27], v[2:3], 2.0, -v[16:17]
	v_fma_f64 v[14:15], v[32:33], 2.0, -v[6:7]
	v_fma_f64 v[18:19], v[47:48], s[4:5], v[28:29]
	v_add_nc_u32_e32 v32, v1, v0
	v_add_f64 v[0:1], v[24:25], v[16:17]
	v_fma_f64 v[2:3], v[45:46], s[0:1], v[12:13]
	v_add_f64 v[12:13], v[26:27], -v[14:15]
	v_fma_f64 v[14:15], v[30:31], s[0:1], v[18:19]
	v_lshrrev_b32_e32 v18, 2, v32
	v_fma_f64 v[16:17], v[16:17], 2.0, -v[0:1]
	v_mul_lo_u32 v18, v18, 7
	v_sub_nc_u32_e32 v32, v38, v18
	v_fma_f64 v[18:19], v[41:42], 2.0, -v[2:3]
	v_mul_f64 v[41:42], v[45:46], s[0:1]
	v_mul_f64 v[45:46], v[30:31], s[0:1]
                                        ; implicit-def: $vgpr30_vgpr31
	v_mul_u32_u24_e32 v56, 0x48, v32
	v_mul_f64 v[32:33], v[43:44], s[0:1]
	v_fma_f64 v[26:27], v[26:27], 2.0, -v[12:13]
	v_fma_f64 v[28:29], v[28:29], 2.0, -v[14:15]
	v_mul_f64 v[43:44], v[47:48], s[0:1]
	v_lshl_add_u32 v49, v56, 3, 0
	v_cmp_gt_u32_e64 s0, 6, v52
	v_lshl_add_u32 v38, v52, 6, v49
	v_lshl_add_u32 v55, v52, 3, v49
	ds_write_b128 v38, v[0:3] offset:48
	ds_write_b128 v38, v[16:19] offset:16
	;; [unrolled: 1-line block ×3, first 2 shown]
	ds_write_b128 v38, v[26:29]
	v_mad_i32_i24 v54, 0xffffffc8, v52, v38
	s_waitcnt lgkmcnt(0)
	s_barrier
	buffer_gl0_inv
	ds_read2_b64 v[12:15], v54 offset0:9 offset1:24
	ds_read2_b64 v[16:19], v54 offset0:33 offset1:48
	ds_read_b64 v[26:27], v55
	ds_read_b64 v[28:29], v54 offset:456
	s_and_saveexec_b32 s1, s0
	s_cbranch_execz .LBB0_14
; %bb.13:
	ds_read2_b64 v[0:3], v54 offset0:18 offset1:42
	ds_read_b64 v[30:31], v54 offset:528
.LBB0_14:
	s_or_b32 exec_lo, exec_lo, s1
	v_add_f64 v[20:21], v[4:5], -v[20:21]
	v_fma_f64 v[8:9], v[8:9], 2.0, -v[22:23]
	s_waitcnt lgkmcnt(0)
	s_barrier
	buffer_gl0_inv
	v_fma_f64 v[4:5], v[4:5], 2.0, -v[20:21]
	v_add_f64 v[22:23], v[20:21], -v[39:40]
	v_add_f64 v[39:40], v[4:5], -v[8:9]
	v_fma_f64 v[47:48], v[20:21], 2.0, -v[22:23]
	v_fma_f64 v[8:9], v[10:11], 2.0, -v[24:25]
	v_add_f64 v[10:11], v[41:42], v[22:23]
	v_fma_f64 v[24:25], v[4:5], 2.0, -v[39:40]
	v_add_f64 v[20:21], v[47:48], -v[45:46]
	v_add_f64 v[4:5], v[39:40], -v[6:7]
	;; [unrolled: 1-line block ×5, first 2 shown]
	v_fma_f64 v[20:21], v[39:40], 2.0, -v[4:5]
	v_fma_f64 v[22:23], v[22:23], 2.0, -v[6:7]
	;; [unrolled: 1-line block ×4, first 2 shown]
	ds_write_b128 v38, v[4:7] offset:48
	ds_write_b128 v38, v[20:23] offset:16
	;; [unrolled: 1-line block ×3, first 2 shown]
	ds_write_b128 v38, v[39:42]
	s_waitcnt lgkmcnt(0)
	s_barrier
	buffer_gl0_inv
	ds_read2_b64 v[8:11], v54 offset0:9 offset1:24
	ds_read2_b64 v[20:23], v54 offset0:33 offset1:48
	ds_read_b64 v[24:25], v55
	ds_read_b64 v[50:51], v54 offset:456
                                        ; implicit-def: $vgpr38_vgpr39
	s_and_saveexec_b32 s1, s0
	s_cbranch_execz .LBB0_16
; %bb.15:
	ds_read2_b64 v[4:7], v54 offset0:18 offset1:42
	ds_read_b64 v[38:39], v54 offset:528
.LBB0_16:
	s_or_b32 exec_lo, exec_lo, s1
	v_and_b32_e32 v78, 7, v52
	v_add_nc_u32_e32 v57, 9, v52
	v_add_nc_u32_e32 v53, 18, v52
	s_mov_b32 s4, 0xe8584caa
	s_mov_b32 s5, 0xbfebb67a
	v_lshlrev_b32_e32 v32, 5, v78
	v_and_b32_e32 v79, 7, v57
	v_and_b32_e32 v80, 7, v53
	s_mov_b32 s7, 0x3febb67a
	s_mov_b32 s6, s4
	s_clause 0x1
	global_load_dwordx4 v[40:43], v32, s[8:9] offset:16
	global_load_dwordx4 v[44:47], v32, s[8:9]
	v_lshlrev_b32_e32 v32, 5, v79
	v_lshlrev_b32_e32 v33, 5, v80
	;; [unrolled: 1-line block ×3, first 2 shown]
	s_clause 0x3
	global_load_dwordx4 v[58:61], v32, s[8:9]
	global_load_dwordx4 v[62:65], v32, s[8:9] offset:16
	global_load_dwordx4 v[66:69], v33, s[8:9] offset:16
	global_load_dwordx4 v[70:73], v33, s[8:9]
	s_waitcnt vmcnt(0) lgkmcnt(0)
	s_barrier
	buffer_gl0_inv
	v_mul_f64 v[32:33], v[22:23], v[42:43]
	v_mul_f64 v[42:43], v[18:19], v[42:43]
	;; [unrolled: 1-line block ×6, first 2 shown]
	v_fma_f64 v[32:33], v[18:19], v[40:41], v[32:33]
	v_fma_f64 v[22:23], v[22:23], v[40:41], -v[42:43]
	v_mul_f64 v[18:19], v[50:51], v[64:65]
	v_fma_f64 v[42:43], v[10:11], v[44:45], -v[46:47]
	v_mul_f64 v[10:11], v[6:7], v[72:73]
	v_fma_f64 v[40:41], v[14:15], v[44:45], v[48:49]
	v_mul_f64 v[14:15], v[16:17], v[60:61]
	v_fma_f64 v[16:17], v[16:17], v[58:59], v[74:75]
	v_mul_f64 v[60:61], v[28:29], v[64:65]
	v_mul_f64 v[64:65], v[30:31], v[68:69]
	v_fma_f64 v[44:45], v[28:29], v[62:63], v[18:19]
	v_mul_f64 v[18:19], v[2:3], v[72:73]
	v_fma_f64 v[28:29], v[30:31], v[66:67], v[76:77]
	v_fma_f64 v[46:47], v[2:3], v[70:71], v[10:11]
	v_fma_f64 v[48:49], v[20:21], v[58:59], -v[14:15]
	v_add_f64 v[2:3], v[40:41], v[32:33]
	v_fma_f64 v[14:15], v[50:51], v[62:63], -v[60:61]
	v_fma_f64 v[50:51], v[38:39], v[66:67], -v[64:65]
	v_add_f64 v[20:21], v[26:27], v[40:41]
	v_add_f64 v[30:31], v[42:43], -v[22:23]
	v_add_f64 v[58:59], v[12:13], v[16:17]
	v_lshrrev_b32_e32 v61, 3, v57
	v_add_f64 v[10:11], v[16:17], v[44:45]
	v_fma_f64 v[6:7], v[6:7], v[70:71], -v[18:19]
	v_add_f64 v[18:19], v[46:47], v[28:29]
	v_add_f64 v[38:39], v[0:1], v[46:47]
	v_fma_f64 v[2:3], v[2:3], -0.5, v[26:27]
	v_add_f64 v[26:27], v[48:49], -v[14:15]
	v_add_f64 v[20:21], v[20:21], v[32:33]
	v_fma_f64 v[10:11], v[10:11], -0.5, v[12:13]
	v_add_f64 v[12:13], v[6:7], -v[50:51]
	v_fma_f64 v[18:19], v[18:19], -0.5, v[0:1]
	v_lshrrev_b32_e32 v0, 3, v52
	v_fma_f64 v[62:63], v[30:31], s[4:5], v[2:3]
	v_fma_f64 v[30:31], v[30:31], s[6:7], v[2:3]
	v_mul_u32_u24_e32 v60, 24, v0
	v_add_f64 v[0:1], v[38:39], v[28:29]
	v_add_f64 v[38:39], v[58:59], v[44:45]
	v_lshl_or_b32 v58, v53, 3, 0x1c0
	v_lshlrev_b32_e32 v59, 3, v80
	v_fma_f64 v[64:65], v[26:27], s[4:5], v[10:11]
	v_fma_f64 v[10:11], v[26:27], s[6:7], v[10:11]
	;; [unrolled: 1-line block ×4, first 2 shown]
	v_mul_u32_u24_e32 v12, 24, v61
	v_or_b32_e32 v13, v60, v78
	v_or_b32_e32 v12, v12, v79
	v_lshlrev_b32_e32 v13, 3, v13
	v_lshlrev_b32_e32 v12, 3, v12
	v_add3_u32 v60, 0, v13, v56
	v_add3_u32 v61, 0, v12, v56
	ds_write2_b64 v60, v[20:21], v[62:63] offset1:8
	ds_write_b64 v60, v[30:31] offset:128
	ds_write2_b64 v61, v[38:39], v[64:65] offset1:8
	ds_write_b64 v61, v[10:11] offset:128
	s_and_saveexec_b32 s1, s0
	s_cbranch_execz .LBB0_18
; %bb.17:
	v_add3_u32 v10, 0, v59, v56
	v_add3_u32 v11, 0, v58, v56
	ds_write_b64 v10, v[0:1] offset:384
	ds_write_b64 v11, v[2:3]
	ds_write_b64 v10, v[26:27] offset:512
.LBB0_18:
	s_or_b32 exec_lo, exec_lo, s1
	s_waitcnt lgkmcnt(0)
	s_barrier
	buffer_gl0_inv
	ds_read2_b64 v[10:13], v54 offset0:9 offset1:24
	ds_read2_b64 v[18:21], v54 offset0:33 offset1:48
	ds_read_b64 v[30:31], v55
	ds_read_b64 v[38:39], v54 offset:456
	s_and_saveexec_b32 s1, s0
	s_cbranch_execz .LBB0_20
; %bb.19:
	ds_read2_b64 v[0:3], v54 offset0:18 offset1:42
	ds_read_b64 v[26:27], v54 offset:528
.LBB0_20:
	s_or_b32 exec_lo, exec_lo, s1
	v_add_f64 v[62:63], v[42:43], v[22:23]
	v_add_f64 v[66:67], v[6:7], v[50:51]
	;; [unrolled: 1-line block ×4, first 2 shown]
	v_add_f64 v[32:33], v[40:41], -v[32:33]
	v_add_f64 v[40:41], v[8:9], v[48:49]
	v_add_f64 v[6:7], v[4:5], v[6:7]
	v_add_f64 v[16:17], v[16:17], -v[44:45]
	v_add_f64 v[28:29], v[46:47], -v[28:29]
	s_mov_b32 s4, 0xe8584caa
	s_mov_b32 s5, 0x3febb67a
	;; [unrolled: 1-line block ×4, first 2 shown]
	s_waitcnt lgkmcnt(0)
	s_barrier
	buffer_gl0_inv
	v_fma_f64 v[24:25], v[62:63], -0.5, v[24:25]
	v_fma_f64 v[44:45], v[66:67], -0.5, v[4:5]
	;; [unrolled: 1-line block ×3, first 2 shown]
	v_add_f64 v[22:23], v[42:43], v[22:23]
	v_add_f64 v[14:15], v[40:41], v[14:15]
	;; [unrolled: 1-line block ×3, first 2 shown]
	v_fma_f64 v[40:41], v[32:33], s[4:5], v[24:25]
	v_fma_f64 v[6:7], v[28:29], s[4:5], v[44:45]
	;; [unrolled: 1-line block ×6, first 2 shown]
	ds_write2_b64 v60, v[22:23], v[40:41] offset1:8
	ds_write_b64 v60, v[24:25] offset:128
	ds_write2_b64 v61, v[14:15], v[32:33] offset1:8
	ds_write_b64 v61, v[8:9] offset:128
	s_and_saveexec_b32 s1, s0
	s_cbranch_execz .LBB0_22
; %bb.21:
	v_add3_u32 v8, 0, v59, v56
	v_add3_u32 v9, 0, v58, v56
	ds_write_b64 v8, v[4:5] offset:384
	ds_write_b64 v9, v[6:7]
	ds_write_b64 v8, v[28:29] offset:512
.LBB0_22:
	s_or_b32 exec_lo, exec_lo, s1
	s_waitcnt lgkmcnt(0)
	s_barrier
	buffer_gl0_inv
	ds_read2_b64 v[14:17], v54 offset0:9 offset1:24
	ds_read2_b64 v[22:25], v54 offset0:33 offset1:48
	ds_read_b64 v[32:33], v55
	ds_read_b64 v[40:41], v54 offset:456
	s_and_saveexec_b32 s1, s0
	s_cbranch_execz .LBB0_24
; %bb.23:
	ds_read2_b64 v[4:7], v54 offset0:18 offset1:42
	ds_read_b64 v[28:29], v54 offset:528
.LBB0_24:
	s_or_b32 exec_lo, exec_lo, s1
	s_and_saveexec_b32 s1, vcc_lo
	s_cbranch_execz .LBB0_27
; %bb.25:
	v_lshlrev_b32_e32 v8, 1, v57
	v_mov_b32_e32 v9, 0
	v_lshlrev_b64 v[34:35], 4, v[34:35]
	s_mov_b32 s5, 0x3febb67a
	v_lshlrev_b64 v[42:43], 4, v[8:9]
	v_lshlrev_b32_e32 v8, 1, v52
	v_lshlrev_b64 v[44:45], 4, v[8:9]
	v_add_co_u32 v46, vcc_lo, s8, v42
	v_add_co_ci_u32_e32 v47, vcc_lo, s9, v43, vcc_lo
	v_mul_lo_u32 v8, s3, v36
	v_add_co_u32 v50, vcc_lo, s8, v44
	v_add_co_ci_u32_e32 v51, vcc_lo, s9, v45, vcc_lo
	s_clause 0x3
	global_load_dwordx4 v[42:45], v[46:47], off offset:256
	global_load_dwordx4 v[46:49], v[46:47], off offset:272
	;; [unrolled: 1-line block ×4, first 2 shown]
	s_waitcnt vmcnt(3)
	v_mul_f64 v[50:51], v[18:19], v[44:45]
	s_waitcnt lgkmcnt(2)
	v_mul_f64 v[44:45], v[22:23], v[44:45]
	s_waitcnt vmcnt(1)
	v_mul_f64 v[64:65], v[12:13], v[56:57]
	s_waitcnt vmcnt(0)
	v_mul_f64 v[66:67], v[20:21], v[60:61]
	v_mul_f64 v[56:57], v[16:17], v[56:57]
	;; [unrolled: 1-line block ×4, first 2 shown]
	s_waitcnt lgkmcnt(0)
	v_mul_f64 v[48:49], v[40:41], v[48:49]
	v_fma_f64 v[22:23], v[22:23], v[42:43], -v[50:51]
	v_fma_f64 v[18:19], v[18:19], v[42:43], v[44:45]
	v_fma_f64 v[16:17], v[16:17], v[54:55], -v[64:65]
	v_fma_f64 v[24:25], v[24:25], v[58:59], -v[66:67]
	v_fma_f64 v[42:43], v[12:13], v[54:55], v[56:57]
	v_fma_f64 v[44:45], v[20:21], v[58:59], v[60:61]
	v_fma_f64 v[40:41], v[40:41], v[46:47], -v[62:63]
	v_fma_f64 v[38:39], v[38:39], v[46:47], v[48:49]
	v_add_nc_u32_e32 v54, 9, v52
	v_mul_lo_u32 v13, s2, v37
	v_mad_u64_u32 v[20:21], null, s2, v36, 0
	v_mul_hi_u32 v50, 0xaaaaaaab, v52
	v_mul_hi_u32 v48, 0xaaaaaaab, v54
	s_mov_b32 s2, 0xe8584caa
	s_mov_b32 s3, 0xbfebb67a
	;; [unrolled: 1-line block ×3, first 2 shown]
	v_add_nc_u32_e32 v12, 18, v52
	v_add3_u32 v21, v21, v13, v8
	v_lshrrev_b32_e32 v8, 4, v50
	v_lshrrev_b32_e32 v13, 4, v48
	v_cmp_gt_u32_e32 vcc_lo, 24, v12
	v_lshlrev_b64 v[20:21], 4, v[20:21]
	v_add_f64 v[56:57], v[32:33], v[16:17]
	v_add_f64 v[48:49], v[16:17], v[24:25]
	v_mul_lo_u32 v55, v13, 24
	v_add_f64 v[50:51], v[42:43], v[44:45]
	v_add_f64 v[36:37], v[22:23], v[40:41]
	;; [unrolled: 1-line block ×3, first 2 shown]
	v_add_co_u32 v67, s1, s14, v20
	v_mul_lo_u32 v66, v8, 24
	v_add_co_ci_u32_e64 v68, s1, s15, v21, s1
	v_sub_nc_u32_e32 v8, v54, v55
	v_add_f64 v[54:55], v[18:19], -v[38:39]
	v_add_f64 v[20:21], v[14:15], v[22:23]
	v_add_f64 v[18:19], v[10:11], v[18:19]
	;; [unrolled: 1-line block ×3, first 2 shown]
	v_add_f64 v[42:43], v[42:43], -v[44:45]
	v_add_f64 v[62:63], v[16:17], -v[24:25]
	;; [unrolled: 1-line block ×3, first 2 shown]
	v_mad_u64_u32 v[64:65], null, 0x48, v13, v[8:9]
	v_sub_nc_u32_e32 v8, v52, v66
	v_mov_b32_e32 v65, v9
	v_fma_f64 v[48:49], v[48:49], -0.5, v[32:33]
	v_fma_f64 v[50:51], v[50:51], -0.5, v[30:31]
	;; [unrolled: 1-line block ×4, first 2 shown]
	v_add_co_u32 v10, s1, v67, v34
	v_add_co_ci_u32_e64 v11, s1, v68, v35, s1
	v_lshlrev_b32_e32 v67, 4, v8
	v_add_nc_u32_e32 v8, 24, v64
	v_lshlrev_b64 v[65:66], 4, v[64:65]
	v_add_f64 v[15:16], v[20:21], v[40:41]
	v_add_f64 v[13:14], v[18:19], v[38:39]
	;; [unrolled: 1-line block ×4, first 2 shown]
	v_lshlrev_b64 v[44:45], 4, v[8:9]
	v_add_nc_u32_e32 v8, 48, v64
	v_fma_f64 v[40:41], v[42:43], s[4:5], v[48:49]
	v_fma_f64 v[38:39], v[62:63], s[2:3], v[50:51]
	;; [unrolled: 1-line block ×8, first 2 shown]
	v_add_co_u32 v42, s1, v10, v67
	v_add_co_ci_u32_e64 v43, s1, 0, v11, s1
	v_add_co_u32 v46, s1, v10, v65
	v_lshlrev_b64 v[48:49], 4, v[8:9]
	v_add_co_ci_u32_e64 v47, s1, v11, v66, s1
	v_add_co_u32 v44, s1, v10, v44
	v_add_co_ci_u32_e64 v45, s1, v11, v45, s1
	v_add_co_u32 v48, s1, v10, v48
	v_add_co_ci_u32_e64 v49, s1, v11, v49, s1
	global_store_dwordx4 v[42:43], v[17:20], off
	global_store_dwordx4 v[42:43], v[38:41], off offset:384
	global_store_dwordx4 v[42:43], v[34:37], off offset:768
	global_store_dwordx4 v[46:47], v[13:16], off
	global_store_dwordx4 v[44:45], v[30:33], off
	;; [unrolled: 1-line block ×3, first 2 shown]
	s_and_b32 exec_lo, exec_lo, vcc_lo
	s_cbranch_execz .LBB0_27
; %bb.26:
	v_add_nc_u32_e32 v8, -6, v52
	v_cndmask_b32_e64 v8, v8, v53, s0
	v_lshlrev_b32_e32 v8, 1, v8
	v_lshlrev_b64 v[13:14], 4, v[8:9]
	v_add_nc_u32_e32 v8, 42, v52
	v_add_co_u32 v17, vcc_lo, s8, v13
	v_add_co_ci_u32_e32 v18, vcc_lo, s9, v14, vcc_lo
	s_clause 0x1
	global_load_dwordx4 v[13:16], v[17:18], off offset:256
	global_load_dwordx4 v[17:20], v[17:18], off offset:272
	s_waitcnt vmcnt(1)
	v_mul_f64 v[21:22], v[6:7], v[15:16]
	s_waitcnt vmcnt(0)
	v_mul_f64 v[23:24], v[28:29], v[19:20]
	v_mul_f64 v[15:16], v[2:3], v[15:16]
	v_mul_f64 v[19:20], v[26:27], v[19:20]
	v_fma_f64 v[2:3], v[2:3], v[13:14], v[21:22]
	v_fma_f64 v[21:22], v[26:27], v[17:18], v[23:24]
	v_fma_f64 v[6:7], v[6:7], v[13:14], -v[15:16]
	v_fma_f64 v[14:15], v[28:29], v[17:18], -v[19:20]
	v_mov_b32_e32 v13, v9
	v_lshlrev_b64 v[12:13], 4, v[12:13]
	v_add_co_u32 v12, vcc_lo, v10, v12
	v_add_co_ci_u32_e32 v13, vcc_lo, v11, v13, vcc_lo
	v_add_f64 v[23:24], v[0:1], v[2:3]
	v_add_f64 v[16:17], v[2:3], v[21:22]
	v_add_f64 v[27:28], v[2:3], -v[21:22]
	v_add_f64 v[18:19], v[6:7], v[14:15]
	v_add_f64 v[25:26], v[6:7], -v[14:15]
	v_add_f64 v[6:7], v[4:5], v[6:7]
	v_fma_f64 v[16:17], v[16:17], -0.5, v[0:1]
	v_add_f64 v[0:1], v[23:24], v[21:22]
	v_fma_f64 v[18:19], v[18:19], -0.5, v[4:5]
	v_add_f64 v[2:3], v[6:7], v[14:15]
	v_fma_f64 v[4:5], v[25:26], s[2:3], v[16:17]
	v_fma_f64 v[14:15], v[25:26], s[4:5], v[16:17]
	;; [unrolled: 1-line block ×4, first 2 shown]
	v_lshlrev_b64 v[18:19], 4, v[8:9]
	v_add_nc_u32_e32 v8, 0x42, v52
	v_lshlrev_b64 v[8:9], 4, v[8:9]
	v_add_co_u32 v18, vcc_lo, v10, v18
	v_add_co_ci_u32_e32 v19, vcc_lo, v11, v19, vcc_lo
	v_add_co_u32 v8, vcc_lo, v10, v8
	v_add_co_ci_u32_e32 v9, vcc_lo, v11, v9, vcc_lo
	global_store_dwordx4 v[12:13], v[0:3], off
	global_store_dwordx4 v[18:19], v[4:7], off
	;; [unrolled: 1-line block ×3, first 2 shown]
.LBB0_27:
	s_endpgm
	.section	.rodata,"a",@progbits
	.p2align	6, 0x0
	.amdhsa_kernel fft_rtc_back_len72_factors_8_3_3_wgs_63_tpt_9_halfLds_dp_op_CI_CI_unitstride_sbrr_dirReg
		.amdhsa_group_segment_fixed_size 0
		.amdhsa_private_segment_fixed_size 0
		.amdhsa_kernarg_size 104
		.amdhsa_user_sgpr_count 6
		.amdhsa_user_sgpr_private_segment_buffer 1
		.amdhsa_user_sgpr_dispatch_ptr 0
		.amdhsa_user_sgpr_queue_ptr 0
		.amdhsa_user_sgpr_kernarg_segment_ptr 1
		.amdhsa_user_sgpr_dispatch_id 0
		.amdhsa_user_sgpr_flat_scratch_init 0
		.amdhsa_user_sgpr_private_segment_size 0
		.amdhsa_wavefront_size32 1
		.amdhsa_uses_dynamic_stack 0
		.amdhsa_system_sgpr_private_segment_wavefront_offset 0
		.amdhsa_system_sgpr_workgroup_id_x 1
		.amdhsa_system_sgpr_workgroup_id_y 0
		.amdhsa_system_sgpr_workgroup_id_z 0
		.amdhsa_system_sgpr_workgroup_info 0
		.amdhsa_system_vgpr_workitem_id 0
		.amdhsa_next_free_vgpr 81
		.amdhsa_next_free_sgpr 27
		.amdhsa_reserve_vcc 1
		.amdhsa_reserve_flat_scratch 0
		.amdhsa_float_round_mode_32 0
		.amdhsa_float_round_mode_16_64 0
		.amdhsa_float_denorm_mode_32 3
		.amdhsa_float_denorm_mode_16_64 3
		.amdhsa_dx10_clamp 1
		.amdhsa_ieee_mode 1
		.amdhsa_fp16_overflow 0
		.amdhsa_workgroup_processor_mode 1
		.amdhsa_memory_ordered 1
		.amdhsa_forward_progress 0
		.amdhsa_shared_vgpr_count 0
		.amdhsa_exception_fp_ieee_invalid_op 0
		.amdhsa_exception_fp_denorm_src 0
		.amdhsa_exception_fp_ieee_div_zero 0
		.amdhsa_exception_fp_ieee_overflow 0
		.amdhsa_exception_fp_ieee_underflow 0
		.amdhsa_exception_fp_ieee_inexact 0
		.amdhsa_exception_int_div_zero 0
	.end_amdhsa_kernel
	.text
.Lfunc_end0:
	.size	fft_rtc_back_len72_factors_8_3_3_wgs_63_tpt_9_halfLds_dp_op_CI_CI_unitstride_sbrr_dirReg, .Lfunc_end0-fft_rtc_back_len72_factors_8_3_3_wgs_63_tpt_9_halfLds_dp_op_CI_CI_unitstride_sbrr_dirReg
                                        ; -- End function
	.section	.AMDGPU.csdata,"",@progbits
; Kernel info:
; codeLenInByte = 4472
; NumSgprs: 29
; NumVgprs: 81
; ScratchSize: 0
; MemoryBound: 1
; FloatMode: 240
; IeeeMode: 1
; LDSByteSize: 0 bytes/workgroup (compile time only)
; SGPRBlocks: 3
; VGPRBlocks: 10
; NumSGPRsForWavesPerEU: 29
; NumVGPRsForWavesPerEU: 81
; Occupancy: 10
; WaveLimiterHint : 1
; COMPUTE_PGM_RSRC2:SCRATCH_EN: 0
; COMPUTE_PGM_RSRC2:USER_SGPR: 6
; COMPUTE_PGM_RSRC2:TRAP_HANDLER: 0
; COMPUTE_PGM_RSRC2:TGID_X_EN: 1
; COMPUTE_PGM_RSRC2:TGID_Y_EN: 0
; COMPUTE_PGM_RSRC2:TGID_Z_EN: 0
; COMPUTE_PGM_RSRC2:TIDIG_COMP_CNT: 0
	.text
	.p2alignl 6, 3214868480
	.fill 48, 4, 3214868480
	.type	__hip_cuid_7cde931e0f6c8eda,@object ; @__hip_cuid_7cde931e0f6c8eda
	.section	.bss,"aw",@nobits
	.globl	__hip_cuid_7cde931e0f6c8eda
__hip_cuid_7cde931e0f6c8eda:
	.byte	0                               ; 0x0
	.size	__hip_cuid_7cde931e0f6c8eda, 1

	.ident	"AMD clang version 19.0.0git (https://github.com/RadeonOpenCompute/llvm-project roc-6.4.0 25133 c7fe45cf4b819c5991fe208aaa96edf142730f1d)"
	.section	".note.GNU-stack","",@progbits
	.addrsig
	.addrsig_sym __hip_cuid_7cde931e0f6c8eda
	.amdgpu_metadata
---
amdhsa.kernels:
  - .args:
      - .actual_access:  read_only
        .address_space:  global
        .offset:         0
        .size:           8
        .value_kind:     global_buffer
      - .offset:         8
        .size:           8
        .value_kind:     by_value
      - .actual_access:  read_only
        .address_space:  global
        .offset:         16
        .size:           8
        .value_kind:     global_buffer
      - .actual_access:  read_only
        .address_space:  global
        .offset:         24
        .size:           8
        .value_kind:     global_buffer
      - .actual_access:  read_only
        .address_space:  global
        .offset:         32
        .size:           8
        .value_kind:     global_buffer
      - .offset:         40
        .size:           8
        .value_kind:     by_value
      - .actual_access:  read_only
        .address_space:  global
        .offset:         48
        .size:           8
        .value_kind:     global_buffer
      - .actual_access:  read_only
        .address_space:  global
        .offset:         56
        .size:           8
        .value_kind:     global_buffer
      - .offset:         64
        .size:           4
        .value_kind:     by_value
      - .actual_access:  read_only
        .address_space:  global
        .offset:         72
        .size:           8
        .value_kind:     global_buffer
      - .actual_access:  read_only
        .address_space:  global
        .offset:         80
        .size:           8
        .value_kind:     global_buffer
      - .actual_access:  read_only
        .address_space:  global
        .offset:         88
        .size:           8
        .value_kind:     global_buffer
      - .actual_access:  write_only
        .address_space:  global
        .offset:         96
        .size:           8
        .value_kind:     global_buffer
    .group_segment_fixed_size: 0
    .kernarg_segment_align: 8
    .kernarg_segment_size: 104
    .language:       OpenCL C
    .language_version:
      - 2
      - 0
    .max_flat_workgroup_size: 63
    .name:           fft_rtc_back_len72_factors_8_3_3_wgs_63_tpt_9_halfLds_dp_op_CI_CI_unitstride_sbrr_dirReg
    .private_segment_fixed_size: 0
    .sgpr_count:     29
    .sgpr_spill_count: 0
    .symbol:         fft_rtc_back_len72_factors_8_3_3_wgs_63_tpt_9_halfLds_dp_op_CI_CI_unitstride_sbrr_dirReg.kd
    .uniform_work_group_size: 1
    .uses_dynamic_stack: false
    .vgpr_count:     81
    .vgpr_spill_count: 0
    .wavefront_size: 32
    .workgroup_processor_mode: 1
amdhsa.target:   amdgcn-amd-amdhsa--gfx1030
amdhsa.version:
  - 1
  - 2
...

	.end_amdgpu_metadata
